;; amdgpu-corpus repo=ROCm/rocFFT kind=compiled arch=gfx906 opt=O3
	.text
	.amdgcn_target "amdgcn-amd-amdhsa--gfx906"
	.amdhsa_code_object_version 6
	.protected	fft_rtc_fwd_len576_factors_16_6_6_wgs_96_tpt_96_halfLds_sp_op_CI_CI_unitstride_sbrr_R2C_dirReg ; -- Begin function fft_rtc_fwd_len576_factors_16_6_6_wgs_96_tpt_96_halfLds_sp_op_CI_CI_unitstride_sbrr_R2C_dirReg
	.globl	fft_rtc_fwd_len576_factors_16_6_6_wgs_96_tpt_96_halfLds_sp_op_CI_CI_unitstride_sbrr_R2C_dirReg
	.p2align	8
	.type	fft_rtc_fwd_len576_factors_16_6_6_wgs_96_tpt_96_halfLds_sp_op_CI_CI_unitstride_sbrr_R2C_dirReg,@function
fft_rtc_fwd_len576_factors_16_6_6_wgs_96_tpt_96_halfLds_sp_op_CI_CI_unitstride_sbrr_R2C_dirReg: ; @fft_rtc_fwd_len576_factors_16_6_6_wgs_96_tpt_96_halfLds_sp_op_CI_CI_unitstride_sbrr_R2C_dirReg
; %bb.0:
	s_load_dwordx4 s[8:11], s[4:5], 0x58
	s_load_dwordx4 s[12:15], s[4:5], 0x0
	;; [unrolled: 1-line block ×3, first 2 shown]
	v_mul_u32_u24_e32 v1, 0x2ab, v0
	v_add_u32_sdwa v5, s6, v1 dst_sel:DWORD dst_unused:UNUSED_PAD src0_sel:DWORD src1_sel:WORD_1
	v_mov_b32_e32 v3, 0
	s_waitcnt lgkmcnt(0)
	v_cmp_lt_u64_e64 s[0:1], s[14:15], 2
	v_mov_b32_e32 v1, 0
	v_mov_b32_e32 v6, v3
	s_and_b64 vcc, exec, s[0:1]
	v_mov_b32_e32 v2, 0
	s_cbranch_vccnz .LBB0_8
; %bb.1:
	s_load_dwordx2 s[0:1], s[4:5], 0x10
	s_add_u32 s2, s18, 8
	s_addc_u32 s3, s19, 0
	s_add_u32 s6, s16, 8
	v_mov_b32_e32 v1, 0
	s_addc_u32 s7, s17, 0
	v_mov_b32_e32 v2, 0
	s_waitcnt lgkmcnt(0)
	s_add_u32 s20, s0, 8
	v_mov_b32_e32 v33, v2
	s_addc_u32 s21, s1, 0
	s_mov_b64 s[22:23], 1
	v_mov_b32_e32 v32, v1
.LBB0_2:                                ; =>This Inner Loop Header: Depth=1
	s_load_dwordx2 s[24:25], s[20:21], 0x0
                                        ; implicit-def: $vgpr34_vgpr35
	s_waitcnt lgkmcnt(0)
	v_or_b32_e32 v4, s25, v6
	v_cmp_ne_u64_e32 vcc, 0, v[3:4]
	s_and_saveexec_b64 s[0:1], vcc
	s_xor_b64 s[26:27], exec, s[0:1]
	s_cbranch_execz .LBB0_4
; %bb.3:                                ;   in Loop: Header=BB0_2 Depth=1
	v_cvt_f32_u32_e32 v4, s24
	v_cvt_f32_u32_e32 v7, s25
	s_sub_u32 s0, 0, s24
	s_subb_u32 s1, 0, s25
	v_mac_f32_e32 v4, 0x4f800000, v7
	v_rcp_f32_e32 v4, v4
	v_mul_f32_e32 v4, 0x5f7ffffc, v4
	v_mul_f32_e32 v7, 0x2f800000, v4
	v_trunc_f32_e32 v7, v7
	v_mac_f32_e32 v4, 0xcf800000, v7
	v_cvt_u32_f32_e32 v7, v7
	v_cvt_u32_f32_e32 v4, v4
	v_mul_lo_u32 v8, s0, v7
	v_mul_hi_u32 v9, s0, v4
	v_mul_lo_u32 v11, s1, v4
	v_mul_lo_u32 v10, s0, v4
	v_add_u32_e32 v8, v9, v8
	v_add_u32_e32 v8, v8, v11
	v_mul_hi_u32 v9, v4, v10
	v_mul_lo_u32 v11, v4, v8
	v_mul_hi_u32 v13, v4, v8
	v_mul_hi_u32 v12, v7, v10
	v_mul_lo_u32 v10, v7, v10
	v_mul_hi_u32 v14, v7, v8
	v_add_co_u32_e32 v9, vcc, v9, v11
	v_addc_co_u32_e32 v11, vcc, 0, v13, vcc
	v_mul_lo_u32 v8, v7, v8
	v_add_co_u32_e32 v9, vcc, v9, v10
	v_addc_co_u32_e32 v9, vcc, v11, v12, vcc
	v_addc_co_u32_e32 v10, vcc, 0, v14, vcc
	v_add_co_u32_e32 v8, vcc, v9, v8
	v_addc_co_u32_e32 v9, vcc, 0, v10, vcc
	v_add_co_u32_e32 v4, vcc, v4, v8
	v_addc_co_u32_e32 v7, vcc, v7, v9, vcc
	v_mul_lo_u32 v8, s0, v7
	v_mul_hi_u32 v9, s0, v4
	v_mul_lo_u32 v10, s1, v4
	v_mul_lo_u32 v11, s0, v4
	v_add_u32_e32 v8, v9, v8
	v_add_u32_e32 v8, v8, v10
	v_mul_lo_u32 v12, v4, v8
	v_mul_hi_u32 v13, v4, v11
	v_mul_hi_u32 v14, v4, v8
	v_mul_hi_u32 v10, v7, v11
	v_mul_lo_u32 v11, v7, v11
	v_mul_hi_u32 v9, v7, v8
	v_add_co_u32_e32 v12, vcc, v13, v12
	v_addc_co_u32_e32 v13, vcc, 0, v14, vcc
	v_mul_lo_u32 v8, v7, v8
	v_add_co_u32_e32 v11, vcc, v12, v11
	v_addc_co_u32_e32 v10, vcc, v13, v10, vcc
	v_addc_co_u32_e32 v9, vcc, 0, v9, vcc
	v_add_co_u32_e32 v8, vcc, v10, v8
	v_addc_co_u32_e32 v9, vcc, 0, v9, vcc
	v_add_co_u32_e32 v4, vcc, v4, v8
	v_addc_co_u32_e32 v9, vcc, v7, v9, vcc
	v_mad_u64_u32 v[7:8], s[0:1], v5, v9, 0
	v_mul_hi_u32 v10, v5, v4
	v_add_co_u32_e32 v11, vcc, v10, v7
	v_addc_co_u32_e32 v12, vcc, 0, v8, vcc
	v_mad_u64_u32 v[7:8], s[0:1], v6, v4, 0
	v_mad_u64_u32 v[9:10], s[0:1], v6, v9, 0
	v_add_co_u32_e32 v4, vcc, v11, v7
	v_addc_co_u32_e32 v4, vcc, v12, v8, vcc
	v_addc_co_u32_e32 v7, vcc, 0, v10, vcc
	v_add_co_u32_e32 v4, vcc, v4, v9
	v_addc_co_u32_e32 v9, vcc, 0, v7, vcc
	v_mul_lo_u32 v10, s25, v4
	v_mul_lo_u32 v11, s24, v9
	v_mad_u64_u32 v[7:8], s[0:1], s24, v4, 0
	v_add3_u32 v8, v8, v11, v10
	v_sub_u32_e32 v10, v6, v8
	v_mov_b32_e32 v11, s25
	v_sub_co_u32_e32 v7, vcc, v5, v7
	v_subb_co_u32_e64 v10, s[0:1], v10, v11, vcc
	v_subrev_co_u32_e64 v11, s[0:1], s24, v7
	v_subbrev_co_u32_e64 v10, s[0:1], 0, v10, s[0:1]
	v_cmp_le_u32_e64 s[0:1], s25, v10
	v_cndmask_b32_e64 v12, 0, -1, s[0:1]
	v_cmp_le_u32_e64 s[0:1], s24, v11
	v_cndmask_b32_e64 v11, 0, -1, s[0:1]
	v_cmp_eq_u32_e64 s[0:1], s25, v10
	v_cndmask_b32_e64 v10, v12, v11, s[0:1]
	v_add_co_u32_e64 v11, s[0:1], 2, v4
	v_addc_co_u32_e64 v12, s[0:1], 0, v9, s[0:1]
	v_add_co_u32_e64 v13, s[0:1], 1, v4
	v_addc_co_u32_e64 v14, s[0:1], 0, v9, s[0:1]
	v_subb_co_u32_e32 v8, vcc, v6, v8, vcc
	v_cmp_ne_u32_e64 s[0:1], 0, v10
	v_cmp_le_u32_e32 vcc, s25, v8
	v_cndmask_b32_e64 v10, v14, v12, s[0:1]
	v_cndmask_b32_e64 v12, 0, -1, vcc
	v_cmp_le_u32_e32 vcc, s24, v7
	v_cndmask_b32_e64 v7, 0, -1, vcc
	v_cmp_eq_u32_e32 vcc, s25, v8
	v_cndmask_b32_e32 v7, v12, v7, vcc
	v_cmp_ne_u32_e32 vcc, 0, v7
	v_cndmask_b32_e64 v7, v13, v11, s[0:1]
	v_cndmask_b32_e32 v35, v9, v10, vcc
	v_cndmask_b32_e32 v34, v4, v7, vcc
.LBB0_4:                                ;   in Loop: Header=BB0_2 Depth=1
	s_andn2_saveexec_b64 s[0:1], s[26:27]
	s_cbranch_execz .LBB0_6
; %bb.5:                                ;   in Loop: Header=BB0_2 Depth=1
	v_cvt_f32_u32_e32 v4, s24
	s_sub_i32 s26, 0, s24
	v_mov_b32_e32 v35, v3
	v_rcp_iflag_f32_e32 v4, v4
	v_mul_f32_e32 v4, 0x4f7ffffe, v4
	v_cvt_u32_f32_e32 v4, v4
	v_mul_lo_u32 v7, s26, v4
	v_mul_hi_u32 v7, v4, v7
	v_add_u32_e32 v4, v4, v7
	v_mul_hi_u32 v4, v5, v4
	v_mul_lo_u32 v7, v4, s24
	v_add_u32_e32 v8, 1, v4
	v_sub_u32_e32 v7, v5, v7
	v_subrev_u32_e32 v9, s24, v7
	v_cmp_le_u32_e32 vcc, s24, v7
	v_cndmask_b32_e32 v7, v7, v9, vcc
	v_cndmask_b32_e32 v4, v4, v8, vcc
	v_add_u32_e32 v8, 1, v4
	v_cmp_le_u32_e32 vcc, s24, v7
	v_cndmask_b32_e32 v34, v4, v8, vcc
.LBB0_6:                                ;   in Loop: Header=BB0_2 Depth=1
	s_or_b64 exec, exec, s[0:1]
	v_mul_lo_u32 v4, v35, s24
	v_mul_lo_u32 v9, v34, s25
	v_mad_u64_u32 v[7:8], s[0:1], v34, s24, 0
	s_load_dwordx2 s[0:1], s[6:7], 0x0
	s_load_dwordx2 s[24:25], s[2:3], 0x0
	v_add3_u32 v4, v8, v9, v4
	v_sub_co_u32_e32 v5, vcc, v5, v7
	v_subb_co_u32_e32 v4, vcc, v6, v4, vcc
	s_waitcnt lgkmcnt(0)
	v_mul_lo_u32 v6, s0, v4
	v_mul_lo_u32 v7, s1, v5
	v_mad_u64_u32 v[1:2], s[0:1], s0, v5, v[1:2]
	v_mul_lo_u32 v4, s24, v4
	v_mul_lo_u32 v8, s25, v5
	v_mad_u64_u32 v[32:33], s[0:1], s24, v5, v[32:33]
	s_add_u32 s22, s22, 1
	s_addc_u32 s23, s23, 0
	s_add_u32 s2, s2, 8
	v_add3_u32 v33, v8, v33, v4
	s_addc_u32 s3, s3, 0
	v_mov_b32_e32 v4, s14
	s_add_u32 s6, s6, 8
	v_mov_b32_e32 v5, s15
	s_addc_u32 s7, s7, 0
	v_cmp_ge_u64_e32 vcc, s[22:23], v[4:5]
	s_add_u32 s20, s20, 8
	v_add3_u32 v2, v7, v2, v6
	s_addc_u32 s21, s21, 0
	s_cbranch_vccnz .LBB0_9
; %bb.7:                                ;   in Loop: Header=BB0_2 Depth=1
	v_mov_b32_e32 v5, v34
	v_mov_b32_e32 v6, v35
	s_branch .LBB0_2
.LBB0_8:
	v_mov_b32_e32 v33, v2
	v_mov_b32_e32 v35, v6
	;; [unrolled: 1-line block ×4, first 2 shown]
.LBB0_9:
	s_load_dwordx2 s[0:1], s[4:5], 0x28
	s_lshl_b64 s[6:7], s[14:15], 3
	s_add_u32 s2, s18, s6
	s_addc_u32 s3, s19, s7
                                        ; implicit-def: $vgpr36
	s_waitcnt lgkmcnt(0)
	v_cmp_gt_u64_e32 vcc, s[0:1], v[34:35]
	v_cmp_le_u64_e64 s[0:1], s[0:1], v[34:35]
	s_and_saveexec_b64 s[4:5], s[0:1]
	s_xor_b64 s[0:1], exec, s[4:5]
; %bb.10:
	s_mov_b32 s4, 0x2aaaaab
	v_mul_hi_u32 v1, v0, s4
	v_mul_u32_u24_e32 v1, 0x60, v1
	v_sub_u32_e32 v36, v0, v1
                                        ; implicit-def: $vgpr0
                                        ; implicit-def: $vgpr1_vgpr2
; %bb.11:
	s_andn2_saveexec_b64 s[4:5], s[0:1]
	s_cbranch_execz .LBB0_13
; %bb.12:
	s_add_u32 s0, s16, s6
	s_addc_u32 s1, s17, s7
	s_load_dwordx2 s[0:1], s[0:1], 0x0
	s_mov_b32 s6, 0x2aaaaab
	v_mul_hi_u32 v5, v0, s6
	s_waitcnt lgkmcnt(0)
	v_mul_lo_u32 v6, s1, v34
	v_mul_lo_u32 v7, s0, v35
	v_mad_u64_u32 v[3:4], s[0:1], s0, v34, 0
	v_mul_u32_u24_e32 v5, 0x60, v5
	v_sub_u32_e32 v36, v0, v5
	v_add3_u32 v4, v4, v7, v6
	v_lshlrev_b64 v[3:4], 3, v[3:4]
	v_mov_b32_e32 v0, s9
	v_add_co_u32_e64 v3, s[0:1], s8, v3
	v_addc_co_u32_e64 v4, s[0:1], v0, v4, s[0:1]
	v_lshlrev_b64 v[0:1], 3, v[1:2]
	v_lshlrev_b32_e32 v14, 3, v36
	v_add_co_u32_e64 v0, s[0:1], v3, v0
	v_addc_co_u32_e64 v1, s[0:1], v4, v1, s[0:1]
	v_add_co_u32_e64 v0, s[0:1], v0, v14
	v_addc_co_u32_e64 v1, s[0:1], 0, v1, s[0:1]
	global_load_dwordx2 v[2:3], v[0:1], off
	global_load_dwordx2 v[4:5], v[0:1], off offset:768
	global_load_dwordx2 v[6:7], v[0:1], off offset:1536
	;; [unrolled: 1-line block ×5, first 2 shown]
	v_add_u32_e32 v0, 0, v14
	v_add_u32_e32 v1, 0x400, v0
	;; [unrolled: 1-line block ×3, first 2 shown]
	s_waitcnt vmcnt(4)
	ds_write2_b64 v0, v[2:3], v[4:5] offset1:96
	s_waitcnt vmcnt(2)
	ds_write2_b64 v1, v[6:7], v[8:9] offset0:64 offset1:160
	s_waitcnt vmcnt(0)
	ds_write2_b64 v14, v[10:11], v[12:13] offset0:128 offset1:224
.LBB0_13:
	s_or_b64 exec, exec, s[4:5]
	v_lshl_add_u32 v38, v36, 3, 0
	s_waitcnt lgkmcnt(0)
	s_barrier
	ds_read2_b64 v[8:11], v38 offset1:36
	ds_read2_b64 v[0:3], v38 offset0:72 offset1:108
	ds_read2_b64 v[12:15], v38 offset0:144 offset1:180
	;; [unrolled: 1-line block ×3, first 2 shown]
	v_add_u32_e32 v37, 0x800, v38
	v_add_u32_e32 v20, 0xc00, v38
	ds_read2_b64 v[16:19], v37 offset0:32 offset1:68
	ds_read2_b64 v[28:31], v20 offset0:120 offset1:156
	;; [unrolled: 1-line block ×4, first 2 shown]
	v_cmp_gt_u32_e64 s[0:1], 36, v36
	s_waitcnt lgkmcnt(0)
	s_barrier
	s_and_saveexec_b64 s[4:5], s[0:1]
	s_cbranch_execz .LBB0_15
; %bb.14:
	v_sub_f32_e32 v18, v10, v18
	v_sub_f32_e32 v19, v11, v19
	;; [unrolled: 1-line block ×9, first 2 shown]
	v_fma_f32 v14, v14, 2.0, -v22
	v_fma_f32 v15, v15, 2.0, -v23
	v_sub_f32_e32 v23, v18, v23
	v_add_f32_e32 v22, v19, v22
	v_sub_f32_e32 v24, v0, v24
	v_sub_f32_e32 v17, v9, v17
	;; [unrolled: 1-line block ×5, first 2 shown]
	v_fma_f32 v40, v3, 2.0, -v27
	v_fma_f32 v42, v1, 2.0, -v25
	;; [unrolled: 1-line block ×4, first 2 shown]
	v_sub_f32_e32 v31, v26, v31
	v_add_f32_e32 v30, v27, v30
	v_fma_f32 v1, v18, 2.0, -v23
	v_fma_f32 v3, v19, 2.0, -v22
	v_sub_f32_e32 v29, v5, v29
	v_sub_f32_e32 v28, v4, v28
	v_fma_f32 v10, v10, 2.0, -v18
	v_fma_f32 v11, v11, 2.0, -v19
	;; [unrolled: 1-line block ×8, first 2 shown]
	v_mov_b32_e32 v18, v1
	v_mov_b32_e32 v19, v3
	v_add_f32_e32 v20, v17, v20
	v_sub_f32_e32 v21, v16, v21
	v_fma_f32 v9, v9, 2.0, -v17
	v_fma_f32 v8, v8, 2.0, -v16
	v_fmac_f32_e32 v18, 0xbf3504f3, v0
	v_fmac_f32_e32 v19, 0xbf3504f3, v2
	v_sub_f32_e32 v26, v24, v29
	v_add_f32_e32 v27, v25, v28
	v_fma_f32 v17, v17, 2.0, -v20
	v_fma_f32 v16, v16, 2.0, -v21
	v_fmac_f32_e32 v18, 0xbf3504f3, v2
	v_fmac_f32_e32 v19, 0x3f3504f3, v0
	v_fma_f32 v0, v24, 2.0, -v26
	v_fma_f32 v2, v25, 2.0, -v27
	v_mov_b32_e32 v24, v17
	v_mov_b32_e32 v25, v16
	v_fmac_f32_e32 v24, 0xbf3504f3, v2
	v_fmac_f32_e32 v25, 0xbf3504f3, v0
	;; [unrolled: 1-line block ×4, first 2 shown]
	v_fma_f32 v17, v17, 2.0, -v24
	v_fma_f32 v16, v16, 2.0, -v25
	;; [unrolled: 1-line block ×4, first 2 shown]
	v_mov_b32_e32 v1, v17
	v_mov_b32_e32 v0, v16
	v_fmac_f32_e32 v1, 0xbf6c835e, v3
	v_fmac_f32_e32 v0, 0xbf6c835e, v2
	v_fma_f32 v4, v4, 2.0, -v28
	v_fma_f32 v5, v5, 2.0, -v29
	v_fmac_f32_e32 v1, 0x3ec3ef15, v2
	v_fmac_f32_e32 v0, 0xbec3ef15, v3
	v_fma_f32 v3, v17, 2.0, -v1
	v_fma_f32 v2, v16, 2.0, -v0
	v_sub_f32_e32 v16, v39, v4
	v_sub_f32_e32 v13, v9, v13
	;; [unrolled: 1-line block ×8, first 2 shown]
	v_fma_f32 v4, v39, 2.0, -v16
	v_fma_f32 v7, v40, 2.0, -v17
	;; [unrolled: 1-line block ×8, first 2 shown]
	v_mov_b32_e32 v44, v20
	v_sub_f32_e32 v39, v9, v5
	v_sub_f32_e32 v40, v10, v6
	;; [unrolled: 1-line block ×4, first 2 shown]
	v_fmac_f32_e32 v44, 0x3f3504f3, v27
	v_mov_b32_e32 v45, v21
	v_fma_f32 v4, v11, 2.0, -v42
	v_fma_f32 v6, v9, 2.0, -v39
	;; [unrolled: 1-line block ×4, first 2 shown]
	v_fmac_f32_e32 v44, 0x3f3504f3, v26
	v_fmac_f32_e32 v45, 0x3f3504f3, v26
	v_mov_b32_e32 v26, v23
	v_sub_f32_e32 v5, v6, v4
	v_sub_f32_e32 v4, v8, v7
	s_movk_i32 s0, 0x78
	v_fmac_f32_e32 v45, 0xbf3504f3, v27
	v_fmac_f32_e32 v26, 0x3f3504f3, v31
	v_mov_b32_e32 v27, v22
	v_fma_f32 v7, v6, 2.0, -v5
	v_fma_f32 v6, v8, 2.0, -v4
	v_mad_u32_u24 v43, v36, s0, v38
	v_fmac_f32_e32 v27, 0x3f3504f3, v30
	v_fmac_f32_e32 v26, 0xbf3504f3, v30
	v_fma_f32 v9, v21, 2.0, -v45
	ds_write2_b64 v43, v[6:7], v[2:3] offset1:1
	v_fmac_f32_e32 v27, 0x3f3504f3, v31
	v_fma_f32 v6, v23, 2.0, -v26
	v_fma_f32 v7, v20, 2.0, -v44
	v_mov_b32_e32 v2, v9
	v_sub_f32_e32 v21, v12, v29
	v_fma_f32 v8, v22, 2.0, -v27
	v_mov_b32_e32 v3, v7
	v_fmac_f32_e32 v2, 0xbec3ef15, v6
	v_add_f32_e32 v16, v13, v16
	v_sub_f32_e32 v17, v14, v17
	v_fma_f32 v12, v12, 2.0, -v21
	v_fmac_f32_e32 v3, 0xbec3ef15, v8
	v_fmac_f32_e32 v2, 0xbf6c835e, v8
	v_add_f32_e32 v20, v15, v28
	v_fma_f32 v10, v14, 2.0, -v17
	v_fma_f32 v11, v13, 2.0, -v16
	v_mov_b32_e32 v8, v12
	v_fmac_f32_e32 v3, 0x3f6c835e, v6
	v_fma_f32 v6, v9, 2.0, -v2
	v_fma_f32 v13, v15, 2.0, -v20
	v_mov_b32_e32 v9, v11
	v_fmac_f32_e32 v8, 0xbf3504f3, v10
	v_fmac_f32_e32 v9, 0xbf3504f3, v13
	;; [unrolled: 1-line block ×3, first 2 shown]
	v_mov_b32_e32 v13, v16
	v_fmac_f32_e32 v13, 0x3f3504f3, v20
	v_fmac_f32_e32 v9, 0x3f3504f3, v10
	v_fma_f32 v10, v12, 2.0, -v8
	v_fmac_f32_e32 v13, 0x3f3504f3, v17
	v_mov_b32_e32 v12, v21
	v_fma_f32 v7, v7, 2.0, -v3
	v_fma_f32 v11, v11, 2.0, -v9
	v_fmac_f32_e32 v12, 0x3f3504f3, v17
	v_fma_f32 v15, v16, 2.0, -v13
	v_mov_b32_e32 v17, v24
	v_mov_b32_e32 v16, v25
	ds_write2_b64 v43, v[10:11], v[6:7] offset0:2 offset1:3
	v_mov_b32_e32 v7, v44
	v_mov_b32_e32 v6, v45
	v_fmac_f32_e32 v12, 0xbf3504f3, v20
	v_fmac_f32_e32 v17, 0x3ec3ef15, v19
	;; [unrolled: 1-line block ×5, first 2 shown]
	v_fma_f32 v14, v21, 2.0, -v12
	v_fmac_f32_e32 v17, 0x3f6c835e, v18
	v_fmac_f32_e32 v16, 0xbf6c835e, v19
	v_sub_f32_e32 v20, v41, v42
	v_add_f32_e32 v21, v39, v40
	v_fmac_f32_e32 v7, 0x3ec3ef15, v26
	v_fmac_f32_e32 v6, 0xbec3ef15, v27
	v_fma_f32 v19, v24, 2.0, -v17
	v_fma_f32 v18, v25, 2.0, -v16
	;; [unrolled: 1-line block ×6, first 2 shown]
	ds_write2_b64 v43, v[22:23], v[18:19] offset0:4 offset1:5
	ds_write2_b64 v43, v[14:15], v[10:11] offset0:6 offset1:7
	ds_write2_b64 v43, v[4:5], v[0:1] offset0:8 offset1:9
	ds_write2_b64 v43, v[8:9], v[2:3] offset0:10 offset1:11
	ds_write2_b64 v43, v[20:21], v[16:17] offset0:12 offset1:13
	ds_write2_b64 v43, v[12:13], v[6:7] offset0:14 offset1:15
.LBB0_15:
	s_or_b64 exec, exec, s[4:5]
	v_and_b32_e32 v22, 15, v36
	v_mul_u32_u24_e32 v0, 5, v22
	v_lshlrev_b32_e32 v8, 3, v0
	s_load_dwordx2 s[2:3], s[2:3], 0x0
	s_waitcnt lgkmcnt(0)
	s_barrier
	global_load_dwordx4 v[0:3], v8, s[12:13]
	global_load_dwordx4 v[4:7], v8, s[12:13] offset:16
	global_load_dwordx2 v[20:21], v8, s[12:13] offset:32
	v_add_u32_e32 v23, 0x400, v38
	ds_read2_b64 v[8:11], v38 offset1:96
	ds_read2_b64 v[12:15], v37 offset0:128 offset1:224
	ds_read2_b64 v[16:19], v23 offset0:64 offset1:160
	v_lshrrev_b32_e32 v24, 4, v36
	v_mul_u32_u24_e32 v24, 0x60, v24
	v_or_b32_e32 v22, v24, v22
	s_waitcnt vmcnt(0) lgkmcnt(0)
	s_barrier
	s_add_u32 s6, s12, 0x1180
	s_addc_u32 s7, s13, 0
	v_cmp_ne_u32_e64 s[0:1], 0, v36
	v_mul_f32_e32 v24, v1, v11
	v_mul_f32_e32 v25, v1, v10
	;; [unrolled: 1-line block ×10, first 2 shown]
	v_fma_f32 v10, v0, v10, -v24
	v_fmac_f32_e32 v25, v0, v11
	v_fma_f32 v0, v2, v16, -v1
	v_fma_f32 v1, v4, v18, -v26
	v_fmac_f32_e32 v5, v4, v19
	v_fma_f32 v4, v20, v14, -v28
	v_fmac_f32_e32 v21, v20, v15
	v_fmac_f32_e32 v3, v2, v17
	v_fma_f32 v2, v6, v12, -v27
	v_fmac_f32_e32 v7, v6, v13
	v_add_f32_e32 v15, v1, v4
	v_sub_f32_e32 v16, v5, v21
	v_add_f32_e32 v17, v25, v5
	v_add_f32_e32 v5, v5, v21
	;; [unrolled: 1-line block ×4, first 2 shown]
	v_sub_f32_e32 v12, v3, v7
	v_add_f32_e32 v13, v9, v3
	v_add_f32_e32 v3, v3, v7
	v_sub_f32_e32 v14, v0, v2
	v_add_f32_e32 v0, v10, v1
	v_fmac_f32_e32 v10, -0.5, v15
	v_fmac_f32_e32 v25, -0.5, v5
	v_sub_f32_e32 v18, v1, v4
	v_add_f32_e32 v2, v6, v2
	v_fma_f32 v6, -0.5, v11, v8
	v_fma_f32 v8, -0.5, v3, v9
	v_mov_b32_e32 v5, v10
	v_mov_b32_e32 v9, v25
	v_add_f32_e32 v7, v13, v7
	v_add_f32_e32 v3, v0, v4
	;; [unrolled: 1-line block ×3, first 2 shown]
	v_mov_b32_e32 v11, v6
	v_mov_b32_e32 v13, v8
	v_fmac_f32_e32 v10, 0xbf5db3d7, v16
	v_fmac_f32_e32 v25, 0x3f5db3d7, v18
	v_fmac_f32_e32 v5, 0x3f5db3d7, v16
	v_fmac_f32_e32 v9, 0xbf5db3d7, v18
	v_fmac_f32_e32 v6, 0xbf5db3d7, v12
	v_fmac_f32_e32 v8, 0x3f5db3d7, v14
	v_add_f32_e32 v0, v2, v3
	v_add_f32_e32 v1, v7, v4
	v_sub_f32_e32 v2, v2, v3
	v_sub_f32_e32 v3, v7, v4
	v_fmac_f32_e32 v11, 0x3f5db3d7, v12
	v_fmac_f32_e32 v13, 0xbf5db3d7, v14
	v_mul_f32_e32 v7, -0.5, v10
	v_mul_f32_e32 v12, -0.5, v25
	v_mul_f32_e32 v14, 0x3f5db3d7, v9
	v_mul_f32_e32 v15, 0xbf5db3d7, v5
	v_fmac_f32_e32 v7, 0x3f5db3d7, v25
	v_fmac_f32_e32 v12, 0xbf5db3d7, v10
	v_fmac_f32_e32 v14, 0.5, v5
	v_fmac_f32_e32 v15, 0.5, v9
	v_add_f32_e32 v4, v6, v7
	v_add_f32_e32 v5, v8, v12
	v_sub_f32_e32 v6, v6, v7
	v_sub_f32_e32 v7, v8, v12
	v_add_f32_e32 v8, v11, v14
	v_add_f32_e32 v9, v13, v15
	v_lshl_add_u32 v12, v22, 3, 0
	v_sub_f32_e32 v10, v11, v14
	v_sub_f32_e32 v11, v13, v15
	ds_write2_b64 v12, v[0:1], v[8:9] offset1:16
	ds_write2_b64 v12, v[4:5], v[2:3] offset0:32 offset1:48
	ds_write2_b64 v12, v[10:11], v[6:7] offset0:64 offset1:80
	v_mul_u32_u24_e32 v0, 5, v36
	v_lshlrev_b32_e32 v8, 3, v0
	s_waitcnt lgkmcnt(0)
	s_barrier
	global_load_dwordx4 v[0:3], v8, s[12:13] offset:640
	global_load_dwordx4 v[4:7], v8, s[12:13] offset:656
	global_load_dwordx2 v[20:21], v8, s[12:13] offset:672
	ds_read2_b64 v[8:11], v38 offset1:96
	ds_read2_b64 v[12:15], v23 offset0:64 offset1:160
	ds_read2_b64 v[16:19], v37 offset0:128 offset1:224
	s_waitcnt vmcnt(0) lgkmcnt(0)
	s_barrier
	v_mul_f32_e32 v22, v1, v11
	v_mul_f32_e32 v24, v1, v10
	;; [unrolled: 1-line block ×10, first 2 shown]
	v_fma_f32 v10, v0, v10, -v22
	v_fmac_f32_e32 v24, v0, v11
	v_fma_f32 v0, v2, v12, -v1
	v_fma_f32 v1, v4, v14, -v25
	v_fmac_f32_e32 v5, v4, v15
	v_fma_f32 v4, v20, v18, -v27
	v_fmac_f32_e32 v21, v20, v19
	v_fmac_f32_e32 v3, v2, v13
	v_fma_f32 v2, v6, v16, -v26
	v_fmac_f32_e32 v7, v6, v17
	v_add_f32_e32 v15, v1, v4
	v_sub_f32_e32 v16, v5, v21
	v_add_f32_e32 v17, v24, v5
	v_add_f32_e32 v5, v5, v21
	;; [unrolled: 1-line block ×4, first 2 shown]
	v_sub_f32_e32 v12, v3, v7
	v_add_f32_e32 v13, v9, v3
	v_add_f32_e32 v3, v3, v7
	v_sub_f32_e32 v14, v0, v2
	v_add_f32_e32 v0, v10, v1
	v_fmac_f32_e32 v10, -0.5, v15
	v_fmac_f32_e32 v24, -0.5, v5
	v_sub_f32_e32 v18, v1, v4
	v_add_f32_e32 v2, v6, v2
	v_fma_f32 v6, -0.5, v11, v8
	v_fma_f32 v8, -0.5, v3, v9
	v_mov_b32_e32 v5, v10
	v_mov_b32_e32 v9, v24
	v_add_f32_e32 v7, v13, v7
	v_add_f32_e32 v3, v0, v4
	;; [unrolled: 1-line block ×3, first 2 shown]
	v_mov_b32_e32 v11, v6
	v_mov_b32_e32 v13, v8
	v_fmac_f32_e32 v10, 0xbf5db3d7, v16
	v_fmac_f32_e32 v24, 0x3f5db3d7, v18
	;; [unrolled: 1-line block ×6, first 2 shown]
	v_add_f32_e32 v0, v2, v3
	v_add_f32_e32 v1, v7, v4
	v_sub_f32_e32 v2, v2, v3
	v_sub_f32_e32 v3, v7, v4
	v_fmac_f32_e32 v11, 0x3f5db3d7, v12
	v_fmac_f32_e32 v13, 0xbf5db3d7, v14
	v_mul_f32_e32 v7, -0.5, v10
	v_mul_f32_e32 v12, -0.5, v24
	v_mul_f32_e32 v14, 0x3f5db3d7, v9
	v_mul_f32_e32 v15, 0xbf5db3d7, v5
	v_fmac_f32_e32 v7, 0x3f5db3d7, v24
	v_fmac_f32_e32 v12, 0xbf5db3d7, v10
	v_fmac_f32_e32 v14, 0.5, v5
	v_fmac_f32_e32 v15, 0.5, v9
	v_add_f32_e32 v4, v6, v7
	v_add_f32_e32 v5, v8, v12
	v_sub_f32_e32 v6, v6, v7
	v_sub_f32_e32 v7, v8, v12
	v_add_f32_e32 v8, v11, v14
	v_add_f32_e32 v9, v13, v15
	v_sub_f32_e32 v10, v11, v14
	v_sub_f32_e32 v11, v13, v15
	ds_write2_b64 v38, v[0:1], v[8:9] offset1:96
	ds_write2_b64 v23, v[4:5], v[2:3] offset0:64 offset1:160
	ds_write2_b64 v37, v[10:11], v[6:7] offset0:128 offset1:224
	s_waitcnt lgkmcnt(0)
	s_barrier
	ds_read_b64 v[0:1], v38
	v_lshlrev_b32_e32 v2, 3, v36
	v_sub_u32_e32 v4, 0, v2
                                        ; implicit-def: $vgpr6
                                        ; implicit-def: $vgpr5
                                        ; implicit-def: $vgpr2_vgpr3
	s_and_saveexec_b64 s[4:5], s[0:1]
	s_xor_b64 s[4:5], exec, s[4:5]
	s_cbranch_execz .LBB0_17
; %bb.16:
	v_mov_b32_e32 v37, 0
	v_lshlrev_b64 v[2:3], 3, v[36:37]
	v_mov_b32_e32 v5, s7
	v_add_co_u32_e64 v2, s[0:1], s6, v2
	v_addc_co_u32_e64 v3, s[0:1], v5, v3, s[0:1]
	global_load_dwordx2 v[2:3], v[2:3], off
	ds_read_b64 v[5:6], v4 offset:4608
	s_waitcnt lgkmcnt(0)
	v_add_f32_e32 v7, v5, v0
	v_add_f32_e32 v8, v6, v1
	v_sub_f32_e32 v0, v0, v5
	v_sub_f32_e32 v1, v1, v6
	v_mul_f32_e32 v6, 0.5, v8
	v_mul_f32_e32 v0, 0.5, v0
	;; [unrolled: 1-line block ×3, first 2 shown]
	s_waitcnt vmcnt(0)
	v_mul_f32_e32 v8, v3, v0
	v_fma_f32 v9, v6, v3, v1
	v_fma_f32 v1, v6, v3, -v1
	v_fma_f32 v5, 0.5, v7, v8
	v_fma_f32 v3, -v2, v0, v9
	v_fma_f32 v7, v7, 0.5, -v8
	v_fma_f32 v0, -v2, v0, v1
	v_fmac_f32_e32 v5, v2, v6
	ds_write_b32 v38, v3 offset:4
	v_fma_f32 v6, -v2, v6, v7
	v_mov_b32_e32 v2, v36
	ds_write_b32 v4, v0 offset:4612
	v_mov_b32_e32 v3, v37
                                        ; implicit-def: $vgpr0_vgpr1
.LBB0_17:
	s_andn2_saveexec_b64 s[0:1], s[4:5]
	s_cbranch_execz .LBB0_19
; %bb.18:
	v_mov_b32_e32 v7, 0
	ds_write_b32 v38, v7 offset:4
	ds_write_b32 v4, v7 offset:4612
	ds_read_b32 v2, v7 offset:2308
	s_waitcnt lgkmcnt(3)
	v_add_f32_e32 v5, v0, v1
	v_sub_f32_e32 v6, v0, v1
	s_waitcnt lgkmcnt(0)
	v_xor_b32_e32 v0, 0x80000000, v2
	v_mov_b32_e32 v2, 0
	v_mov_b32_e32 v3, 0
	ds_write_b32 v7, v0 offset:2308
.LBB0_19:
	s_or_b64 exec, exec, s[0:1]
	s_waitcnt lgkmcnt(0)
	v_lshlrev_b64 v[0:1], 3, v[2:3]
	v_mov_b32_e32 v2, s7
	v_add_co_u32_e64 v0, s[0:1], s6, v0
	v_addc_co_u32_e64 v1, s[0:1], v2, v1, s[0:1]
	global_load_dwordx2 v[2:3], v[0:1], off offset:768
	global_load_dwordx2 v[7:8], v[0:1], off offset:1536
	ds_write_b32 v38, v5
	ds_write_b32 v4, v6 offset:4608
	ds_read_b64 v[0:1], v38 offset:768
	ds_read_b64 v[5:6], v4 offset:3840
	s_waitcnt lgkmcnt(0)
	v_add_f32_e32 v9, v0, v5
	v_sub_f32_e32 v0, v0, v5
	v_add_f32_e32 v10, v1, v6
	v_sub_f32_e32 v1, v1, v6
	v_mul_f32_e32 v0, 0.5, v0
	v_mul_f32_e32 v5, 0.5, v10
	v_mul_f32_e32 v1, 0.5, v1
	s_waitcnt vmcnt(1)
	v_mul_f32_e32 v6, v3, v0
	v_fma_f32 v10, v5, v3, v1
	v_fma_f32 v1, v5, v3, -v1
	v_fma_f32 v3, 0.5, v9, v6
	v_fma_f32 v10, -v2, v0, v10
	v_fma_f32 v6, v9, 0.5, -v6
	v_fmac_f32_e32 v3, v2, v5
	v_fma_f32 v1, -v2, v0, v1
	v_fma_f32 v0, -v2, v5, v6
	ds_write2_b32 v38, v3, v10 offset0:192 offset1:193
	ds_write_b64 v4, v[0:1] offset:3840
	ds_read_b64 v[0:1], v38 offset:1536
	ds_read_b64 v[2:3], v4 offset:3072
	v_add_u32_e32 v5, 0x400, v38
	s_waitcnt lgkmcnt(0)
	v_add_f32_e32 v6, v0, v2
	v_sub_f32_e32 v0, v0, v2
	v_add_f32_e32 v9, v1, v3
	v_sub_f32_e32 v1, v1, v3
	v_mul_f32_e32 v0, 0.5, v0
	v_mul_f32_e32 v2, 0.5, v9
	v_mul_f32_e32 v1, 0.5, v1
	s_waitcnt vmcnt(0)
	v_mul_f32_e32 v3, v8, v0
	v_fma_f32 v9, v2, v8, v1
	v_fma_f32 v1, v2, v8, -v1
	v_fma_f32 v8, 0.5, v6, v3
	v_fma_f32 v9, -v7, v0, v9
	v_fma_f32 v3, v6, 0.5, -v3
	v_fmac_f32_e32 v8, v7, v2
	v_fma_f32 v1, -v7, v0, v1
	v_fma_f32 v0, -v7, v2, v3
	ds_write2_b32 v5, v8, v9 offset0:128 offset1:129
	ds_write_b64 v4, v[0:1] offset:3072
	s_waitcnt lgkmcnt(0)
	s_barrier
	s_and_saveexec_b64 s[0:1], vcc
	s_cbranch_execz .LBB0_22
; %bb.20:
	v_mul_lo_u32 v2, s3, v34
	v_mul_lo_u32 v3, s2, v35
	v_mad_u64_u32 v[0:1], s[0:1], s2, v34, 0
	v_mov_b32_e32 v6, s11
	v_lshl_add_u32 v8, v36, 3, 0
	v_add3_u32 v1, v1, v3, v2
	v_lshlrev_b64 v[0:1], 3, v[0:1]
	v_mov_b32_e32 v37, 0
	v_add_co_u32_e32 v0, vcc, s10, v0
	v_addc_co_u32_e32 v9, vcc, v6, v1, vcc
	v_lshlrev_b64 v[6:7], 3, v[32:33]
	ds_read2_b64 v[2:5], v8 offset1:96
	v_add_co_u32_e32 v1, vcc, v0, v6
	v_addc_co_u32_e32 v0, vcc, v9, v7, vcc
	v_lshlrev_b64 v[6:7], 3, v[36:37]
	s_movk_i32 s0, 0x5f
	v_add_co_u32_e32 v6, vcc, v1, v6
	v_addc_co_u32_e32 v7, vcc, v0, v7, vcc
	s_waitcnt lgkmcnt(0)
	global_store_dwordx2 v[6:7], v[2:3], off
	v_add_u32_e32 v2, 0x60, v36
	v_mov_b32_e32 v3, v37
	v_lshlrev_b64 v[2:3], 3, v[2:3]
	v_add_u32_e32 v6, 0xc0, v36
	v_add_co_u32_e32 v2, vcc, v1, v2
	v_addc_co_u32_e32 v3, vcc, v0, v3, vcc
	global_store_dwordx2 v[2:3], v[4:5], off
	v_add_u32_e32 v2, 0x400, v8
	v_mov_b32_e32 v7, v37
	ds_read2_b64 v[2:5], v2 offset0:64 offset1:160
	v_lshlrev_b64 v[6:7], 3, v[6:7]
	v_add_co_u32_e32 v6, vcc, v1, v6
	v_addc_co_u32_e32 v7, vcc, v0, v7, vcc
	s_waitcnt lgkmcnt(0)
	global_store_dwordx2 v[6:7], v[2:3], off
	v_add_u32_e32 v2, 0x120, v36
	v_mov_b32_e32 v3, v37
	v_lshlrev_b64 v[2:3], 3, v[2:3]
	v_add_u32_e32 v6, 0x180, v36
	v_add_co_u32_e32 v2, vcc, v1, v2
	v_addc_co_u32_e32 v3, vcc, v0, v3, vcc
	global_store_dwordx2 v[2:3], v[4:5], off
	v_add_u32_e32 v2, 0x800, v8
	v_mov_b32_e32 v7, v37
	ds_read2_b64 v[2:5], v2 offset0:128 offset1:224
	v_lshlrev_b64 v[6:7], 3, v[6:7]
	v_add_co_u32_e32 v6, vcc, v1, v6
	v_addc_co_u32_e32 v7, vcc, v0, v7, vcc
	s_waitcnt lgkmcnt(0)
	global_store_dwordx2 v[6:7], v[2:3], off
	v_add_u32_e32 v2, 0x1e0, v36
	v_mov_b32_e32 v3, v37
	v_lshlrev_b64 v[2:3], 3, v[2:3]
	v_add_co_u32_e32 v2, vcc, v1, v2
	v_addc_co_u32_e32 v3, vcc, v0, v3, vcc
	v_cmp_eq_u32_e32 vcc, s0, v36
	global_store_dwordx2 v[2:3], v[4:5], off
	s_and_b64 exec, exec, vcc
	s_cbranch_execz .LBB0_22
; %bb.21:
	ds_read_b64 v[2:3], v37 offset:4608
	v_add_co_u32_e32 v4, vcc, 0x1000, v1
	v_addc_co_u32_e32 v5, vcc, 0, v0, vcc
	s_waitcnt lgkmcnt(0)
	global_store_dwordx2 v[4:5], v[2:3], off offset:512
.LBB0_22:
	s_endpgm
	.section	.rodata,"a",@progbits
	.p2align	6, 0x0
	.amdhsa_kernel fft_rtc_fwd_len576_factors_16_6_6_wgs_96_tpt_96_halfLds_sp_op_CI_CI_unitstride_sbrr_R2C_dirReg
		.amdhsa_group_segment_fixed_size 0
		.amdhsa_private_segment_fixed_size 0
		.amdhsa_kernarg_size 104
		.amdhsa_user_sgpr_count 6
		.amdhsa_user_sgpr_private_segment_buffer 1
		.amdhsa_user_sgpr_dispatch_ptr 0
		.amdhsa_user_sgpr_queue_ptr 0
		.amdhsa_user_sgpr_kernarg_segment_ptr 1
		.amdhsa_user_sgpr_dispatch_id 0
		.amdhsa_user_sgpr_flat_scratch_init 0
		.amdhsa_user_sgpr_private_segment_size 0
		.amdhsa_uses_dynamic_stack 0
		.amdhsa_system_sgpr_private_segment_wavefront_offset 0
		.amdhsa_system_sgpr_workgroup_id_x 1
		.amdhsa_system_sgpr_workgroup_id_y 0
		.amdhsa_system_sgpr_workgroup_id_z 0
		.amdhsa_system_sgpr_workgroup_info 0
		.amdhsa_system_vgpr_workitem_id 0
		.amdhsa_next_free_vgpr 46
		.amdhsa_next_free_sgpr 28
		.amdhsa_reserve_vcc 1
		.amdhsa_reserve_flat_scratch 0
		.amdhsa_float_round_mode_32 0
		.amdhsa_float_round_mode_16_64 0
		.amdhsa_float_denorm_mode_32 3
		.amdhsa_float_denorm_mode_16_64 3
		.amdhsa_dx10_clamp 1
		.amdhsa_ieee_mode 1
		.amdhsa_fp16_overflow 0
		.amdhsa_exception_fp_ieee_invalid_op 0
		.amdhsa_exception_fp_denorm_src 0
		.amdhsa_exception_fp_ieee_div_zero 0
		.amdhsa_exception_fp_ieee_overflow 0
		.amdhsa_exception_fp_ieee_underflow 0
		.amdhsa_exception_fp_ieee_inexact 0
		.amdhsa_exception_int_div_zero 0
	.end_amdhsa_kernel
	.text
.Lfunc_end0:
	.size	fft_rtc_fwd_len576_factors_16_6_6_wgs_96_tpt_96_halfLds_sp_op_CI_CI_unitstride_sbrr_R2C_dirReg, .Lfunc_end0-fft_rtc_fwd_len576_factors_16_6_6_wgs_96_tpt_96_halfLds_sp_op_CI_CI_unitstride_sbrr_R2C_dirReg
                                        ; -- End function
	.section	.AMDGPU.csdata,"",@progbits
; Kernel info:
; codeLenInByte = 4724
; NumSgprs: 32
; NumVgprs: 46
; ScratchSize: 0
; MemoryBound: 0
; FloatMode: 240
; IeeeMode: 1
; LDSByteSize: 0 bytes/workgroup (compile time only)
; SGPRBlocks: 3
; VGPRBlocks: 11
; NumSGPRsForWavesPerEU: 32
; NumVGPRsForWavesPerEU: 46
; Occupancy: 5
; WaveLimiterHint : 1
; COMPUTE_PGM_RSRC2:SCRATCH_EN: 0
; COMPUTE_PGM_RSRC2:USER_SGPR: 6
; COMPUTE_PGM_RSRC2:TRAP_HANDLER: 0
; COMPUTE_PGM_RSRC2:TGID_X_EN: 1
; COMPUTE_PGM_RSRC2:TGID_Y_EN: 0
; COMPUTE_PGM_RSRC2:TGID_Z_EN: 0
; COMPUTE_PGM_RSRC2:TIDIG_COMP_CNT: 0
	.type	__hip_cuid_fe4e1b4d9e4d8160,@object ; @__hip_cuid_fe4e1b4d9e4d8160
	.section	.bss,"aw",@nobits
	.globl	__hip_cuid_fe4e1b4d9e4d8160
__hip_cuid_fe4e1b4d9e4d8160:
	.byte	0                               ; 0x0
	.size	__hip_cuid_fe4e1b4d9e4d8160, 1

	.ident	"AMD clang version 19.0.0git (https://github.com/RadeonOpenCompute/llvm-project roc-6.4.0 25133 c7fe45cf4b819c5991fe208aaa96edf142730f1d)"
	.section	".note.GNU-stack","",@progbits
	.addrsig
	.addrsig_sym __hip_cuid_fe4e1b4d9e4d8160
	.amdgpu_metadata
---
amdhsa.kernels:
  - .args:
      - .actual_access:  read_only
        .address_space:  global
        .offset:         0
        .size:           8
        .value_kind:     global_buffer
      - .offset:         8
        .size:           8
        .value_kind:     by_value
      - .actual_access:  read_only
        .address_space:  global
        .offset:         16
        .size:           8
        .value_kind:     global_buffer
      - .actual_access:  read_only
        .address_space:  global
        .offset:         24
        .size:           8
        .value_kind:     global_buffer
      - .actual_access:  read_only
        .address_space:  global
        .offset:         32
        .size:           8
        .value_kind:     global_buffer
      - .offset:         40
        .size:           8
        .value_kind:     by_value
      - .actual_access:  read_only
        .address_space:  global
        .offset:         48
        .size:           8
        .value_kind:     global_buffer
      - .actual_access:  read_only
        .address_space:  global
        .offset:         56
        .size:           8
        .value_kind:     global_buffer
      - .offset:         64
        .size:           4
        .value_kind:     by_value
      - .actual_access:  read_only
        .address_space:  global
        .offset:         72
        .size:           8
        .value_kind:     global_buffer
      - .actual_access:  read_only
        .address_space:  global
        .offset:         80
        .size:           8
        .value_kind:     global_buffer
      - .actual_access:  read_only
        .address_space:  global
        .offset:         88
        .size:           8
        .value_kind:     global_buffer
      - .actual_access:  write_only
        .address_space:  global
        .offset:         96
        .size:           8
        .value_kind:     global_buffer
    .group_segment_fixed_size: 0
    .kernarg_segment_align: 8
    .kernarg_segment_size: 104
    .language:       OpenCL C
    .language_version:
      - 2
      - 0
    .max_flat_workgroup_size: 96
    .name:           fft_rtc_fwd_len576_factors_16_6_6_wgs_96_tpt_96_halfLds_sp_op_CI_CI_unitstride_sbrr_R2C_dirReg
    .private_segment_fixed_size: 0
    .sgpr_count:     32
    .sgpr_spill_count: 0
    .symbol:         fft_rtc_fwd_len576_factors_16_6_6_wgs_96_tpt_96_halfLds_sp_op_CI_CI_unitstride_sbrr_R2C_dirReg.kd
    .uniform_work_group_size: 1
    .uses_dynamic_stack: false
    .vgpr_count:     46
    .vgpr_spill_count: 0
    .wavefront_size: 64
amdhsa.target:   amdgcn-amd-amdhsa--gfx906
amdhsa.version:
  - 1
  - 2
...

	.end_amdgpu_metadata
